;; amdgpu-corpus repo=ROCm/rocFFT kind=compiled arch=gfx906 opt=O3
	.text
	.amdgcn_target "amdgcn-amd-amdhsa--gfx906"
	.amdhsa_code_object_version 6
	.protected	fft_rtc_back_len1287_factors_3_13_3_11_wgs_117_tpt_117_half_op_CI_CI_unitstride_sbrr_dirReg ; -- Begin function fft_rtc_back_len1287_factors_3_13_3_11_wgs_117_tpt_117_half_op_CI_CI_unitstride_sbrr_dirReg
	.globl	fft_rtc_back_len1287_factors_3_13_3_11_wgs_117_tpt_117_half_op_CI_CI_unitstride_sbrr_dirReg
	.p2align	8
	.type	fft_rtc_back_len1287_factors_3_13_3_11_wgs_117_tpt_117_half_op_CI_CI_unitstride_sbrr_dirReg,@function
fft_rtc_back_len1287_factors_3_13_3_11_wgs_117_tpt_117_half_op_CI_CI_unitstride_sbrr_dirReg: ; @fft_rtc_back_len1287_factors_3_13_3_11_wgs_117_tpt_117_half_op_CI_CI_unitstride_sbrr_dirReg
; %bb.0:
	s_load_dwordx4 s[8:11], s[4:5], 0x58
	s_load_dwordx4 s[12:15], s[4:5], 0x0
	;; [unrolled: 1-line block ×3, first 2 shown]
	v_mul_u32_u24_e32 v1, 0x231, v0
	v_mov_b32_e32 v3, 0
	v_mov_b32_e32 v6, 0
	s_waitcnt lgkmcnt(0)
	v_cmp_lt_u64_e64 s[0:1], s[14:15], 2
	v_add_u32_sdwa v8, s6, v1 dst_sel:DWORD dst_unused:UNUSED_PAD src0_sel:DWORD src1_sel:WORD_1
	v_mov_b32_e32 v9, v3
	s_and_b64 vcc, exec, s[0:1]
	v_mov_b32_e32 v7, 0
	s_cbranch_vccnz .LBB0_8
; %bb.1:
	s_load_dwordx2 s[0:1], s[4:5], 0x10
	s_add_u32 s2, s18, 8
	s_addc_u32 s3, s19, 0
	s_add_u32 s6, s16, 8
	s_addc_u32 s7, s17, 0
	v_mov_b32_e32 v6, 0
	s_waitcnt lgkmcnt(0)
	s_add_u32 s20, s0, 8
	v_mov_b32_e32 v7, 0
	v_mov_b32_e32 v1, v6
	s_addc_u32 s21, s1, 0
	s_mov_b64 s[22:23], 1
	v_mov_b32_e32 v2, v7
.LBB0_2:                                ; =>This Inner Loop Header: Depth=1
	s_load_dwordx2 s[24:25], s[20:21], 0x0
	s_waitcnt lgkmcnt(0)
	v_or_b32_e32 v4, s25, v9
	v_cmp_ne_u64_e32 vcc, 0, v[3:4]
                                        ; implicit-def: $vgpr4_vgpr5
	s_and_saveexec_b64 s[0:1], vcc
	s_xor_b64 s[26:27], exec, s[0:1]
	s_cbranch_execz .LBB0_4
; %bb.3:                                ;   in Loop: Header=BB0_2 Depth=1
	v_cvt_f32_u32_e32 v4, s24
	v_cvt_f32_u32_e32 v5, s25
	s_sub_u32 s0, 0, s24
	s_subb_u32 s1, 0, s25
	v_mac_f32_e32 v4, 0x4f800000, v5
	v_rcp_f32_e32 v4, v4
	v_mul_f32_e32 v4, 0x5f7ffffc, v4
	v_mul_f32_e32 v5, 0x2f800000, v4
	v_trunc_f32_e32 v5, v5
	v_mac_f32_e32 v4, 0xcf800000, v5
	v_cvt_u32_f32_e32 v5, v5
	v_cvt_u32_f32_e32 v4, v4
	v_mul_lo_u32 v10, s0, v5
	v_mul_hi_u32 v11, s0, v4
	v_mul_lo_u32 v13, s1, v4
	v_mul_lo_u32 v12, s0, v4
	v_add_u32_e32 v10, v11, v10
	v_add_u32_e32 v10, v10, v13
	v_mul_hi_u32 v11, v4, v12
	v_mul_lo_u32 v13, v4, v10
	v_mul_hi_u32 v15, v4, v10
	v_mul_hi_u32 v14, v5, v12
	v_mul_lo_u32 v12, v5, v12
	v_mul_hi_u32 v16, v5, v10
	v_add_co_u32_e32 v11, vcc, v11, v13
	v_addc_co_u32_e32 v13, vcc, 0, v15, vcc
	v_mul_lo_u32 v10, v5, v10
	v_add_co_u32_e32 v11, vcc, v11, v12
	v_addc_co_u32_e32 v11, vcc, v13, v14, vcc
	v_addc_co_u32_e32 v12, vcc, 0, v16, vcc
	v_add_co_u32_e32 v10, vcc, v11, v10
	v_addc_co_u32_e32 v11, vcc, 0, v12, vcc
	v_add_co_u32_e32 v4, vcc, v4, v10
	v_addc_co_u32_e32 v5, vcc, v5, v11, vcc
	v_mul_lo_u32 v10, s0, v5
	v_mul_hi_u32 v11, s0, v4
	v_mul_lo_u32 v12, s1, v4
	v_mul_lo_u32 v13, s0, v4
	v_add_u32_e32 v10, v11, v10
	v_add_u32_e32 v10, v10, v12
	v_mul_lo_u32 v14, v4, v10
	v_mul_hi_u32 v15, v4, v13
	v_mul_hi_u32 v16, v4, v10
	v_mul_hi_u32 v12, v5, v13
	v_mul_lo_u32 v13, v5, v13
	v_mul_hi_u32 v11, v5, v10
	v_add_co_u32_e32 v14, vcc, v15, v14
	v_addc_co_u32_e32 v15, vcc, 0, v16, vcc
	v_mul_lo_u32 v10, v5, v10
	v_add_co_u32_e32 v13, vcc, v14, v13
	v_addc_co_u32_e32 v12, vcc, v15, v12, vcc
	v_addc_co_u32_e32 v11, vcc, 0, v11, vcc
	v_add_co_u32_e32 v10, vcc, v12, v10
	v_addc_co_u32_e32 v11, vcc, 0, v11, vcc
	v_add_co_u32_e32 v10, vcc, v4, v10
	v_addc_co_u32_e32 v11, vcc, v5, v11, vcc
	v_mad_u64_u32 v[4:5], s[0:1], v8, v11, 0
	v_mul_hi_u32 v12, v8, v10
	v_add_co_u32_e32 v12, vcc, v12, v4
	v_addc_co_u32_e32 v13, vcc, 0, v5, vcc
	v_mad_u64_u32 v[4:5], s[0:1], v9, v10, 0
	v_mad_u64_u32 v[10:11], s[0:1], v9, v11, 0
	v_add_co_u32_e32 v4, vcc, v12, v4
	v_addc_co_u32_e32 v4, vcc, v13, v5, vcc
	v_addc_co_u32_e32 v5, vcc, 0, v11, vcc
	v_add_co_u32_e32 v10, vcc, v4, v10
	v_addc_co_u32_e32 v11, vcc, 0, v5, vcc
	v_mul_lo_u32 v12, s25, v10
	v_mul_lo_u32 v13, s24, v11
	v_mad_u64_u32 v[4:5], s[0:1], s24, v10, 0
	v_add3_u32 v5, v5, v13, v12
	v_sub_u32_e32 v12, v9, v5
	v_mov_b32_e32 v13, s25
	v_sub_co_u32_e32 v4, vcc, v8, v4
	v_subb_co_u32_e64 v12, s[0:1], v12, v13, vcc
	v_subrev_co_u32_e64 v13, s[0:1], s24, v4
	v_subbrev_co_u32_e64 v12, s[0:1], 0, v12, s[0:1]
	v_cmp_le_u32_e64 s[0:1], s25, v12
	v_cndmask_b32_e64 v14, 0, -1, s[0:1]
	v_cmp_le_u32_e64 s[0:1], s24, v13
	v_cndmask_b32_e64 v13, 0, -1, s[0:1]
	v_cmp_eq_u32_e64 s[0:1], s25, v12
	v_cndmask_b32_e64 v12, v14, v13, s[0:1]
	v_add_co_u32_e64 v13, s[0:1], 2, v10
	v_addc_co_u32_e64 v14, s[0:1], 0, v11, s[0:1]
	v_add_co_u32_e64 v15, s[0:1], 1, v10
	v_addc_co_u32_e64 v16, s[0:1], 0, v11, s[0:1]
	v_subb_co_u32_e32 v5, vcc, v9, v5, vcc
	v_cmp_ne_u32_e64 s[0:1], 0, v12
	v_cmp_le_u32_e32 vcc, s25, v5
	v_cndmask_b32_e64 v12, v16, v14, s[0:1]
	v_cndmask_b32_e64 v14, 0, -1, vcc
	v_cmp_le_u32_e32 vcc, s24, v4
	v_cndmask_b32_e64 v4, 0, -1, vcc
	v_cmp_eq_u32_e32 vcc, s25, v5
	v_cndmask_b32_e32 v4, v14, v4, vcc
	v_cmp_ne_u32_e32 vcc, 0, v4
	v_cndmask_b32_e64 v4, v15, v13, s[0:1]
	v_cndmask_b32_e32 v5, v11, v12, vcc
	v_cndmask_b32_e32 v4, v10, v4, vcc
.LBB0_4:                                ;   in Loop: Header=BB0_2 Depth=1
	s_andn2_saveexec_b64 s[0:1], s[26:27]
	s_cbranch_execz .LBB0_6
; %bb.5:                                ;   in Loop: Header=BB0_2 Depth=1
	v_cvt_f32_u32_e32 v4, s24
	s_sub_i32 s26, 0, s24
	v_rcp_iflag_f32_e32 v4, v4
	v_mul_f32_e32 v4, 0x4f7ffffe, v4
	v_cvt_u32_f32_e32 v4, v4
	v_mul_lo_u32 v5, s26, v4
	v_mul_hi_u32 v5, v4, v5
	v_add_u32_e32 v4, v4, v5
	v_mul_hi_u32 v4, v8, v4
	v_mul_lo_u32 v5, v4, s24
	v_add_u32_e32 v10, 1, v4
	v_sub_u32_e32 v5, v8, v5
	v_subrev_u32_e32 v11, s24, v5
	v_cmp_le_u32_e32 vcc, s24, v5
	v_cndmask_b32_e32 v5, v5, v11, vcc
	v_cndmask_b32_e32 v4, v4, v10, vcc
	v_add_u32_e32 v10, 1, v4
	v_cmp_le_u32_e32 vcc, s24, v5
	v_cndmask_b32_e32 v4, v4, v10, vcc
	v_mov_b32_e32 v5, v3
.LBB0_6:                                ;   in Loop: Header=BB0_2 Depth=1
	s_or_b64 exec, exec, s[0:1]
	v_mul_lo_u32 v12, v5, s24
	v_mul_lo_u32 v13, v4, s25
	v_mad_u64_u32 v[10:11], s[0:1], v4, s24, 0
	s_load_dwordx2 s[0:1], s[6:7], 0x0
	s_load_dwordx2 s[24:25], s[2:3], 0x0
	v_add3_u32 v11, v11, v13, v12
	v_sub_co_u32_e32 v8, vcc, v8, v10
	v_subb_co_u32_e32 v9, vcc, v9, v11, vcc
	s_waitcnt lgkmcnt(0)
	v_mul_lo_u32 v10, s0, v9
	v_mul_lo_u32 v11, s1, v8
	v_mad_u64_u32 v[6:7], s[0:1], s0, v8, v[6:7]
	v_mul_lo_u32 v9, s24, v9
	v_mul_lo_u32 v12, s25, v8
	v_mad_u64_u32 v[1:2], s[0:1], s24, v8, v[1:2]
	s_add_u32 s22, s22, 1
	s_addc_u32 s23, s23, 0
	s_add_u32 s2, s2, 8
	v_add3_u32 v2, v12, v2, v9
	s_addc_u32 s3, s3, 0
	v_mov_b32_e32 v8, s14
	s_add_u32 s6, s6, 8
	v_mov_b32_e32 v9, s15
	s_addc_u32 s7, s7, 0
	v_cmp_ge_u64_e32 vcc, s[22:23], v[8:9]
	s_add_u32 s20, s20, 8
	v_add3_u32 v7, v11, v7, v10
	s_addc_u32 s21, s21, 0
	s_cbranch_vccnz .LBB0_9
; %bb.7:                                ;   in Loop: Header=BB0_2 Depth=1
	v_mov_b32_e32 v9, v5
	v_mov_b32_e32 v8, v4
	s_branch .LBB0_2
.LBB0_8:
	v_mov_b32_e32 v1, v6
	v_mov_b32_e32 v4, v8
	;; [unrolled: 1-line block ×4, first 2 shown]
.LBB0_9:
	s_load_dwordx2 s[2:3], s[4:5], 0x28
	s_lshl_b64 s[6:7], s[14:15], 3
	s_add_u32 s4, s18, s6
	s_addc_u32 s5, s19, s7
                                        ; implicit-def: $sgpr14
                                        ; implicit-def: $vgpr18
	s_waitcnt lgkmcnt(0)
	v_cmp_gt_u64_e64 s[0:1], s[2:3], v[4:5]
	v_cmp_le_u64_e32 vcc, s[2:3], v[4:5]
	s_and_saveexec_b64 s[2:3], vcc
	s_xor_b64 s[2:3], exec, s[2:3]
; %bb.10:
	s_mov_b32 s14, 0x2302303
	v_mul_hi_u32 v3, v0, s14
	s_mov_b32 s14, 0
                                        ; implicit-def: $vgpr6_vgpr7
	v_mul_u32_u24_e32 v3, 0x75, v3
	v_sub_u32_e32 v18, v0, v3
                                        ; implicit-def: $vgpr0
; %bb.11:
	s_or_saveexec_b64 s[2:3], s[2:3]
	s_load_dwordx2 s[4:5], s[4:5], 0x0
	v_mov_b32_e32 v3, s14
                                        ; implicit-def: $vgpr8
                                        ; implicit-def: $vgpr20
                                        ; implicit-def: $vgpr9
                                        ; implicit-def: $vgpr21
                                        ; implicit-def: $vgpr15
                                        ; implicit-def: $vgpr19
                                        ; implicit-def: $vgpr12
                                        ; implicit-def: $vgpr13
                                        ; implicit-def: $vgpr16
                                        ; implicit-def: $vgpr17
                                        ; implicit-def: $vgpr10
                                        ; implicit-def: $vgpr14
	s_xor_b64 exec, exec, s[2:3]
	s_cbranch_execz .LBB0_15
; %bb.12:
	s_add_u32 s6, s16, s6
	s_addc_u32 s7, s17, s7
	s_load_dwordx2 s[6:7], s[6:7], 0x0
	s_mov_b32 s14, 0x2302303
	v_mul_hi_u32 v3, v0, s14
	v_lshlrev_b64 v[6:7], 2, v[6:7]
                                        ; implicit-def: $vgpr19
                                        ; implicit-def: $vgpr15
	s_waitcnt lgkmcnt(0)
	v_mul_lo_u32 v10, s7, v4
	v_mul_lo_u32 v11, s6, v5
	v_mad_u64_u32 v[8:9], s[6:7], s6, v4, 0
	v_mul_u32_u24_e32 v3, 0x75, v3
	v_sub_u32_e32 v18, v0, v3
	v_add3_u32 v9, v9, v11, v10
	v_lshlrev_b64 v[8:9], 2, v[8:9]
	v_mov_b32_e32 v0, s9
	v_add_co_u32_e32 v3, vcc, s8, v8
	v_addc_co_u32_e32 v0, vcc, v0, v9, vcc
	v_add_co_u32_e32 v3, vcc, v3, v6
	v_addc_co_u32_e32 v0, vcc, v0, v7, vcc
	v_lshlrev_b32_e32 v6, 2, v18
	v_add_co_u32_e32 v6, vcc, v3, v6
	v_addc_co_u32_e32 v7, vcc, 0, v0, vcc
	global_load_dword v8, v[6:7], off
	global_load_dword v12, v[6:7], off offset:468
	global_load_dword v13, v[6:7], off offset:2184
	;; [unrolled: 1-line block ×7, first 2 shown]
	v_add_co_u32_e32 v21, vcc, 0x1000, v6
	v_addc_co_u32_e32 v22, vcc, 0, v7, vcc
	global_load_dword v17, v[21:22], off offset:272
	s_movk_i32 s6, 0x4e
	v_cmp_gt_u32_e32 vcc, s6, v18
                                        ; implicit-def: $vgpr21
	s_and_saveexec_b64 s[6:7], vcc
	s_cbranch_execz .LBB0_14
; %bb.13:
	v_add_co_u32_e32 v22, vcc, 0x1000, v6
	v_addc_co_u32_e32 v23, vcc, 0, v7, vcc
	global_load_dword v19, v[6:7], off offset:1404
	global_load_dword v15, v[6:7], off offset:3120
	global_load_dword v21, v[22:23], off offset:740
.LBB0_14:
	s_or_b64 exec, exec, s[6:7]
	v_mov_b32_e32 v3, v18
.LBB0_15:
	s_or_b64 exec, exec, s[2:3]
	s_waitcnt vmcnt(2)
	v_pk_add_f16 v0, v8, v20
	v_pk_add_f16 v6, v0, v9
	s_waitcnt vmcnt(1)
	v_pk_add_f16 v0, v15, v19
	s_waitcnt vmcnt(0)
	v_pk_add_f16 v11, v21, v0
	v_pk_add_f16 v0, v21, v15
	v_pk_add_f16 v7, v15, v21 neg_lo:[0,1] neg_hi:[0,1]
	s_movk_i32 s2, 0x3aee
	v_pk_fma_f16 v0, v0, 0.5, v19 op_sel_hi:[1,0,1] neg_lo:[1,0,0] neg_hi:[1,0,0]
	v_pk_mul_f16 v7, v7, s2 op_sel_hi:[1,0]
	v_pk_add_f16 v15, v7, v0 op_sel:[1,0] op_sel_hi:[0,1]
	v_pk_add_f16 v19, v0, v7 op_sel:[0,1] op_sel_hi:[1,0] neg_lo:[0,1] neg_hi:[0,1]
	v_pk_add_f16 v7, v20, v9
	v_pk_fma_f16 v7, v7, 0.5, v8 op_sel_hi:[1,0,1] neg_lo:[1,0,0] neg_hi:[1,0,0]
	v_pk_add_f16 v8, v20, v9 neg_lo:[0,1] neg_hi:[0,1]
	v_pk_mul_f16 v9, v8, s2 op_sel_hi:[1,0]
	v_pk_add_f16 v8, v9, v7 op_sel:[1,0] op_sel_hi:[0,1]
	v_pk_add_f16 v7, v7, v9 op_sel:[0,1] op_sel_hi:[1,0] neg_lo:[0,1] neg_hi:[0,1]
	s_mov_b32 s6, 0xffff
	v_mad_u32_u24 v0, v18, 12, 0
	v_bfi_b32 v9, s6, v7, v8
	ds_write2_b32 v0, v6, v9 offset1:1
	v_bfi_b32 v9, s6, v8, v7
	ds_write_b32 v0, v9 offset:8
	v_pk_add_f16 v9, v12, v13
	v_pk_add_f16 v21, v13, v16
	v_pk_add_f16 v13, v13, v16 neg_lo:[0,1] neg_hi:[0,1]
	v_pk_add_f16 v9, v9, v16
	v_pk_fma_f16 v12, v21, 0.5, v12 op_sel_hi:[1,0,1] neg_lo:[1,0,0] neg_hi:[1,0,0]
	v_pk_mul_f16 v16, v13, s2 op_sel_hi:[1,0]
	v_pk_add_f16 v13, v16, v12 op_sel:[1,0] op_sel_hi:[0,1]
	v_pk_add_f16 v12, v12, v16 op_sel:[0,1] op_sel_hi:[1,0] neg_lo:[0,1] neg_hi:[0,1]
	v_add_u32_e32 v20, 0x57c, v0
	v_bfi_b32 v16, s6, v12, v13
	ds_write2_b32 v20, v9, v16 offset1:1
	v_bfi_b32 v16, s6, v13, v12
	ds_write_b32 v0, v16 offset:1412
	v_pk_add_f16 v16, v10, v14
	v_pk_add_f16 v21, v17, v10
	v_pk_add_f16 v10, v10, v17 neg_lo:[0,1] neg_hi:[0,1]
	v_pk_add_f16 v16, v17, v16
	v_pk_fma_f16 v14, v21, 0.5, v14 op_sel_hi:[1,0,1] neg_lo:[1,0,0] neg_hi:[1,0,0]
	v_pk_mul_f16 v17, v10, s2 op_sel_hi:[1,0]
	v_pk_add_f16 v10, v17, v14 op_sel:[1,0] op_sel_hi:[0,1]
	v_pk_add_f16 v17, v14, v17 op_sel:[0,1] op_sel_hi:[1,0] neg_lo:[0,1] neg_hi:[0,1]
	v_add_u32_e32 v20, 0xaf8, v0
	v_bfi_b32 v14, s6, v17, v10
	s_movk_i32 s2, 0x4e
	ds_write2_b32 v20, v16, v14 offset1:1
	v_bfi_b32 v14, s6, v10, v17
	v_cmp_gt_u32_e32 vcc, s2, v18
	ds_write_b32 v0, v14 offset:2816
	s_and_saveexec_b64 s[2:3], vcc
	s_cbranch_execz .LBB0_17
; %bb.16:
	v_add_u32_e32 v14, 0x1078, v0
	v_bfi_b32 v20, s6, v15, v19
	v_bfi_b32 v21, s6, v19, v15
	ds_write_b32 v0, v11 offset:4212
	ds_write2_b32 v14, v21, v20 offset1:1
.LBB0_17:
	s_or_b64 exec, exec, s[2:3]
	s_movk_i32 s2, 0x63
	v_lshrrev_b32_e32 v20, 16, v7
	v_lshrrev_b32_e32 v32, 16, v12
	;; [unrolled: 1-line block ×3, first 2 shown]
	v_cmp_gt_u32_e64 s[2:3], s2, v18
	v_lshrrev_b32_e32 v22, 16, v15
	v_lshrrev_b32_e32 v38, 16, v8
	;; [unrolled: 1-line block ×6, first 2 shown]
	s_waitcnt lgkmcnt(0)
	s_barrier
	s_waitcnt lgkmcnt(0)
                                        ; implicit-def: $vgpr25
                                        ; implicit-def: $vgpr24
	s_and_saveexec_b64 s[6:7], s[2:3]
	s_cbranch_execz .LBB0_19
; %bb.18:
	v_lshlrev_b32_e32 v6, 3, v18
	v_sub_u32_e32 v0, v0, v6
	v_add_u32_e32 v10, 0x400, v0
	v_add_u32_e32 v8, 0x200, v0
	ds_read2_b32 v[12:13], v10 offset0:140 offset1:239
	v_add_u32_e32 v10, 0xc00, v0
	v_add_u32_e32 v14, 0xe00, v0
	ds_read2_b32 v[6:7], v0 offset1:99
	ds_read2_b32 v[8:9], v8 offset0:70 offset1:169
	ds_read2_b32 v[10:11], v10 offset0:24 offset1:123
	;; [unrolled: 1-line block ×3, first 2 shown]
	ds_read_b32 v24, v0 offset:4752
	v_add_u32_e32 v0, 0x800, v0
	ds_read2_b32 v[16:17], v0 offset0:82 offset1:181
	s_mov_b32 s8, 0xffff
	s_waitcnt lgkmcnt(3)
	v_lshrrev_b32_e32 v21, 16, v10
	s_waitcnt lgkmcnt(2)
	v_lshrrev_b32_e32 v22, 16, v14
	;; [unrolled: 2-line block ×3, first 2 shown]
	v_lshrrev_b32_e32 v38, 16, v7
	v_lshrrev_b32_e32 v20, 16, v8
	;; [unrolled: 1-line block ×5, first 2 shown]
	s_waitcnt lgkmcnt(0)
	v_lshrrev_b32_e32 v29, 16, v16
	v_lshrrev_b32_e32 v30, 16, v17
	v_bfi_b32 v19, s8, v14, v15
.LBB0_19:
	s_or_b64 exec, exec, s[6:7]
	s_movk_i32 s6, 0xab
	v_mul_lo_u16_sdwa v0, v18, s6 dst_sel:DWORD dst_unused:UNUSED_PAD src0_sel:BYTE_0 src1_sel:DWORD
	v_lshrrev_b16_e32 v0, 9, v0
	v_mul_lo_u16_e32 v14, 3, v0
	v_sub_u16_e32 v14, v18, v14
	v_mov_b32_e32 v23, 12
	v_mul_u32_u24_sdwa v23, v14, v23 dst_sel:DWORD dst_unused:UNUSED_PAD src0_sel:BYTE_0 src1_sel:DWORD
	v_lshlrev_b32_e32 v23, 2, v23
	global_load_dwordx4 v[33:36], v23, s[12:13] offset:32
	global_load_dwordx4 v[40:43], v23, s[12:13] offset:16
	global_load_dwordx4 v[44:47], v23, s[12:13]
	v_lshrrev_b32_e32 v23, 16, v19
	v_lshrrev_b32_e32 v31, 16, v11
	s_movk_i32 s8, 0x388b
	s_mov_b32 s9, 0xb5ac
	s_mov_b32 s17, 0xba95
	s_movk_i32 s16, 0x2fb7
	s_mov_b32 s15, 0xbb7b
	s_mov_b32 s14, 0xbbc4
	;; [unrolled: 1-line block ×5, first 2 shown]
	s_movk_i32 s24, 0x394e
	s_movk_i32 s27, 0x3b7b
	s_movk_i32 s21, 0x3b15
	s_movk_i32 s22, 0x3770
	s_movk_i32 s23, 0x3bf1
	s_movk_i32 s26, 0x33a8
	s_mov_b32 s25, 0xb94e
	s_movk_i32 s28, 0x3a95
	s_waitcnt vmcnt(0)
	s_barrier
	v_mul_f16_sdwa v28, v15, v35 dst_sel:DWORD dst_unused:UNUSED_PAD src0_sel:DWORD src1_sel:WORD_1
	v_mul_f16_sdwa v49, v25, v36 dst_sel:DWORD dst_unused:UNUSED_PAD src0_sel:DWORD src1_sel:WORD_1
	;; [unrolled: 1-line block ×21, first 2 shown]
	v_fma_f16 v23, v23, v35, -v28
	v_fma_f16 v28, v24, v36, v49
	v_fma_f16 v24, v25, v36, -v50
	v_fma_f16 v32, v32, v40, -v59
	v_fma_f16 v40, v13, v40, v60
	v_fma_f16 v13, v37, v46, -v64
	v_fma_f16 v37, v39, v47, -v66
	;; [unrolled: 1-line block ×3, first 2 shown]
	v_mul_f16_sdwa v52, v31, v33 dst_sel:DWORD dst_unused:UNUSED_PAD src0_sel:DWORD src1_sel:WORD_1
	v_fma_f16 v27, v19, v34, v27
	v_fma_f16 v22, v22, v34, -v48
	v_fma_f16 v25, v31, v33, -v51
	v_fma_f16 v34, v16, v41, v53
	v_fma_f16 v36, v10, v43, v57
	v_fma_f16 v29, v29, v41, -v55
	v_fma_f16 v31, v21, v43, -v58
	v_fma_f16 v41, v8, v45, v61
	v_fma_f16 v43, v12, v47, v65
	v_fma_f16 v12, v20, v45, -v63
	v_fma_f16 v45, v7, v44, v68
	v_sub_f16_e32 v49, v39, v24
	v_mul_f16_sdwa v54, v30, v42 dst_sel:DWORD dst_unused:UNUSED_PAD src0_sel:DWORD src1_sel:WORD_1
	v_mul_f16_sdwa v56, v17, v42 dst_sel:DWORD dst_unused:UNUSED_PAD src0_sel:DWORD src1_sel:WORD_1
	v_fma_f16 v26, v15, v35, v26
	v_fma_f16 v33, v11, v33, v52
	v_add_f16_e32 v7, v45, v28
	v_sub_f16_e32 v48, v12, v23
	v_add_f16_e32 v52, v39, v24
	v_mul_f16_e32 v55, 0xba95, v49
	v_fma_f16 v35, v17, v42, v54
	v_fma_f16 v30, v30, v42, -v56
	v_fma_f16 v42, v9, v46, v62
	v_add_f16_e32 v8, v41, v26
	v_sub_f16_e32 v9, v45, v28
	v_add_f16_e32 v50, v12, v23
	v_mul_f16_e32 v54, 0xbb7b, v48
	v_mul_f16_e32 v59, 0x388b, v52
	;; [unrolled: 1-line block ×3, first 2 shown]
	v_fma_f16 v11, v7, s8, -v55
	v_sub_f16_e32 v10, v41, v26
	v_mul_f16_e32 v58, 0xb5ac, v50
	v_mul_f16_e32 v61, 0xb3a8, v48
	v_fma_f16 v15, v8, s9, -v54
	v_fma_f16 v16, v9, s17, v59
	v_fma_f16 v19, v7, s16, -v63
	v_add_f16_e32 v11, v6, v11
	v_mul_f16_e32 v70, 0x2fb7, v52
	v_fma_f16 v17, v10, s15, v58
	v_fma_f16 v20, v8, s14, -v61
	v_add_f16_sdwa v16, v6, v16 dst_sel:DWORD dst_unused:UNUSED_PAD src0_sel:WORD_1 src1_sel:DWORD
	v_add_f16_e32 v19, v6, v19
	v_add_f16_e32 v15, v15, v11
	v_fma_f16 v11, v9, s18, v70
	v_mul_f16_e32 v71, 0xbbc4, v50
	v_add_f16_e32 v16, v17, v16
	v_add_f16_e32 v17, v20, v19
	v_add_f16_sdwa v11, v6, v11 dst_sel:DWORD dst_unused:UNUSED_PAD src0_sel:WORD_1 src1_sel:DWORD
	v_fma_f16 v19, v10, s20, v71
	v_mul_f16_e32 v80, 0xbb7b, v49
	v_add_f16_e32 v19, v19, v11
	v_fma_f16 v11, v7, s9, -v80
	v_mul_f16_e32 v81, 0x394e, v48
	v_add_f16_e32 v11, v6, v11
	v_fma_f16 v20, v8, s19, -v81
	v_mul_f16_e32 v87, 0xb5ac, v52
	v_add_f16_e32 v20, v20, v11
	v_fma_f16 v11, v9, s15, v87
	v_mul_f16_e32 v88, 0xb9fd, v50
	v_add_f16_sdwa v11, v6, v11 dst_sel:DWORD dst_unused:UNUSED_PAD src0_sel:WORD_1 src1_sel:DWORD
	v_fma_f16 v21, v10, s24, v88
	v_sub_f16_e32 v56, v13, v22
	v_add_f16_e32 v21, v21, v11
	v_add_f16_e32 v11, v42, v27
	v_mul_f16_e32 v64, 0xb3a8, v56
	v_fma_f16 v38, v11, s14, -v64
	v_add_f16_e32 v60, v13, v22
	v_add_f16_e32 v15, v38, v15
	v_sub_f16_e32 v38, v42, v27
	v_mul_f16_e32 v65, 0xbbc4, v60
	v_fma_f16 v44, v38, s20, v65
	v_mul_f16_e32 v69, 0x3b7b, v56
	v_add_f16_e32 v16, v44, v16
	v_fma_f16 v44, v11, s9, -v69
	v_mul_f16_e32 v78, 0xb5ac, v60
	v_add_f16_e32 v17, v44, v17
	v_fma_f16 v44, v38, s27, v78
	v_mul_f16_e32 v86, 0x3770, v56
	v_add_f16_e32 v19, v44, v19
	v_fma_f16 v44, v11, s21, -v86
	v_mul_f16_e32 v92, 0x3b15, v60
	v_add_f16_e32 v20, v44, v20
	v_fma_f16 v44, v38, s22, v92
	v_sub_f16_e32 v62, v37, v25
	v_add_f16_e32 v21, v44, v21
	v_add_f16_e32 v44, v43, v33
	v_mul_f16_e32 v68, 0x394e, v62
	v_fma_f16 v46, v44, s19, -v68
	v_add_f16_e32 v66, v37, v25
	v_add_f16_e32 v15, v46, v15
	v_sub_f16_e32 v46, v43, v33
	v_mul_f16_e32 v73, 0xb9fd, v66
	v_fma_f16 v47, v46, s24, v73
	v_mul_f16_e32 v76, 0x3770, v62
	v_add_f16_e32 v16, v47, v16
	v_fma_f16 v47, v44, s21, -v76
	v_mul_f16_e32 v84, 0x3b15, v66
	v_add_f16_e32 v17, v47, v17
	v_fma_f16 v47, v46, s22, v84
	v_mul_f16_e32 v91, 0xbbf1, v62
	v_add_f16_e32 v19, v47, v19
	v_fma_f16 v47, v44, s16, -v91
	v_mul_f16_e32 v95, 0x2fb7, v66
	v_add_f16_e32 v20, v47, v20
	v_fma_f16 v47, v46, s18, v95
	v_sub_f16_e32 v67, v32, v31
	v_add_f16_e32 v21, v47, v21
	v_add_f16_e32 v47, v40, v36
	v_mul_f16_e32 v75, 0x3bf1, v67
	v_fma_f16 v51, v47, s16, -v75
	v_add_f16_e32 v72, v32, v31
	v_add_f16_e32 v15, v51, v15
	v_sub_f16_e32 v51, v40, v36
	v_mul_f16_e32 v79, 0x2fb7, v72
	v_fma_f16 v53, v51, s23, v79
	v_mul_f16_e32 v83, 0xba95, v67
	v_add_f16_e32 v16, v53, v16
	v_fma_f16 v53, v47, s8, -v83
	v_mul_f16_e32 v90, 0x388b, v72
	v_add_f16_e32 v93, v53, v17
	v_fma_f16 v17, v51, s17, v90
	v_mul_f16_e32 v94, 0x33a8, v67
	v_add_f16_e32 v96, v17, v19
	v_fma_f16 v17, v47, s14, -v94
	v_mul_f16_e32 v97, 0xbbc4, v72
	v_sub_f16_e32 v74, v29, v30
	v_add_f16_e32 v20, v17, v20
	v_fma_f16 v17, v51, s26, v97
	v_add_f16_e32 v53, v34, v35
	v_mul_f16_e32 v82, 0x3770, v74
	v_add_f16_e32 v77, v29, v30
	v_add_f16_e32 v99, v17, v21
	v_fma_f16 v17, v53, s21, -v82
	v_sub_f16_e32 v57, v34, v35
	v_mul_f16_e32 v85, 0x3b15, v77
	v_add_f16_e32 v15, v17, v15
	v_fma_f16 v17, v57, s22, v85
	v_mul_f16_e32 v89, 0xb94e, v74
	v_add_f16_e32 v17, v17, v16
	v_fma_f16 v16, v53, s19, -v89
	v_add_f16_e32 v19, v16, v93
	v_mul_f16_e32 v93, 0xb9fd, v77
	v_fma_f16 v16, v57, s25, v93
	v_add_f16_e32 v21, v16, v96
	v_mul_f16_e32 v96, 0x3a95, v74
	v_fma_f16 v16, v53, s8, -v96
	v_mul_f16_e32 v98, 0x388b, v77
	v_add_f16_e32 v16, v16, v20
	v_fma_f16 v20, v57, s28, v98
	v_add_f16_e32 v20, v20, v99
	s_and_saveexec_b64 s[6:7], s[2:3]
	s_cbranch_execz .LBB0_21
; %bb.20:
	v_mul_f16_e32 v99, 0xbbc4, v52
	v_fma_f16 v100, v9, s26, v99
	v_mul_f16_e32 v101, 0x3b15, v50
	s_mov_b32 s2, 0xb770
	v_add_f16_sdwa v100, v6, v100 dst_sel:DWORD dst_unused:UNUSED_PAD src0_sel:WORD_1 src1_sel:DWORD
	v_fma_f16 v102, v10, s2, v101
	v_add_f16_e32 v100, v102, v100
	v_mul_f16_e32 v102, 0xb9fd, v60
	v_fma_f16 v103, v38, s24, v102
	v_add_f16_e32 v100, v103, v100
	v_mul_f16_e32 v103, 0x388b, v66
	;; [unrolled: 3-line block ×5, first 2 shown]
	v_fma_f16 v107, v7, s14, v106
	v_mul_f16_e32 v108, 0x3770, v48
	v_add_f16_e32 v107, v6, v107
	v_fma_f16 v109, v8, s21, v108
	v_add_f16_e32 v107, v109, v107
	v_mul_f16_e32 v109, 0xb94e, v56
	v_fma_f16 v110, v11, s19, v109
	v_add_f16_e32 v107, v110, v107
	v_mul_f16_e32 v110, 0x3a95, v62
	;; [unrolled: 3-line block ×5, first 2 shown]
	v_fma_f16 v114, v9, s24, v113
	v_mul_f16_e32 v115, 0x2fb7, v50
	v_add_f16_sdwa v114, v6, v114 dst_sel:DWORD dst_unused:UNUSED_PAD src0_sel:WORD_1 src1_sel:DWORD
	v_fma_f16 v116, v10, s18, v115
	v_add_f16_e32 v114, v116, v114
	v_mul_f16_e32 v116, 0x388b, v60
	v_fma_f16 v117, v38, s28, v116
	v_add_f16_e32 v114, v117, v114
	v_mul_f16_e32 v117, 0xbbc4, v66
	;; [unrolled: 3-line block ×5, first 2 shown]
	v_fma_f16 v121, v7, s19, v120
	v_mul_f16_e32 v122, 0x3bf1, v48
	v_add_f16_e32 v121, v6, v121
	v_fma_f16 v123, v8, s16, v122
	v_add_f16_e32 v121, v123, v121
	v_mul_f16_e32 v123, 0xba95, v56
	v_fma_f16 v124, v11, s8, v123
	v_add_f16_e32 v121, v124, v121
	v_mul_f16_e32 v124, 0x33a8, v62
	;; [unrolled: 3-line block ×5, first 2 shown]
	v_sub_f16_e32 v87, v87, v127
	v_mul_f16_e32 v127, 0x394e, v10
	v_sub_f16_e32 v88, v88, v127
	v_add_f16_sdwa v87, v6, v87 dst_sel:DWORD dst_unused:UNUSED_PAD src0_sel:WORD_1 src1_sel:DWORD
	v_add_f16_e32 v87, v88, v87
	v_mul_f16_e32 v88, 0x3770, v38
	v_sub_f16_e32 v88, v92, v88
	v_add_f16_e32 v45, v6, v45
	v_add_f16_e32 v87, v88, v87
	v_mul_f16_e32 v88, 0xbbf1, v46
	v_add_f16_e32 v41, v45, v41
	v_sub_f16_e32 v88, v95, v88
	v_add_f16_e32 v41, v41, v42
	v_add_f16_e32 v87, v88, v87
	v_mul_f16_e32 v88, 0x33a8, v51
	v_add_f16_e32 v41, v41, v43
	;; [unrolled: 5-line block ×4, first 2 shown]
	v_add_f16_e32 v80, v88, v80
	v_mul_f16_e32 v88, 0xb9fd, v8
	v_add_f16_e32 v33, v34, v33
	v_add_f16_e32 v81, v88, v81
	;; [unrolled: 1-line block ×3, first 2 shown]
	v_mul_f16_e32 v92, 0xbbf1, v9
	v_add_f16_e32 v27, v33, v27
	v_add_f16_e32 v80, v81, v80
	v_mul_f16_e32 v81, 0x3b15, v11
	v_sub_f16_e32 v70, v70, v92
	v_mul_f16_e32 v92, 0xb3a8, v10
	v_add_f16_e32 v26, v27, v26
	v_add_f16_sdwa v27, v6, v39 dst_sel:DWORD dst_unused:UNUSED_PAD src0_sel:WORD_1 src1_sel:DWORD
	v_add_f16_e32 v81, v81, v86
	v_sub_f16_e32 v71, v71, v92
	v_add_f16_sdwa v70, v6, v70 dst_sel:DWORD dst_unused:UNUSED_PAD src0_sel:WORD_1 src1_sel:DWORD
	v_add_f16_e32 v12, v27, v12
	v_add_f16_e32 v80, v81, v80
	v_mul_f16_e32 v81, 0x2fb7, v44
	v_add_f16_e32 v70, v71, v70
	v_mul_f16_e32 v71, 0x3b7b, v38
	v_add_f16_e32 v12, v12, v13
	v_add_f16_e32 v81, v81, v91
	v_sub_f16_e32 v71, v78, v71
	v_add_f16_e32 v12, v12, v37
	v_add_f16_e32 v80, v81, v80
	v_mul_f16_e32 v81, 0xbbc4, v47
	v_add_f16_e32 v70, v71, v70
	v_mul_f16_e32 v71, 0x3770, v46
	v_add_f16_e32 v12, v12, v32
	v_add_f16_e32 v81, v81, v94
	v_sub_f16_e32 v71, v84, v71
	v_add_f16_e32 v12, v12, v29
	v_add_f16_e32 v80, v81, v80
	v_mul_f16_e32 v81, 0x388b, v53
	v_add_f16_e32 v70, v71, v70
	v_mul_f16_e32 v71, 0xba95, v51
	;; [unrolled: 2-line block ×3, first 2 shown]
	v_add_f16_e32 v81, v81, v96
	v_sub_f16_e32 v71, v90, v71
	v_add_f16_e32 v12, v12, v31
	v_mul_f16_e32 v88, 0xba95, v9
	v_mul_f16_e32 v91, 0x2fb7, v7
	v_add_f16_e32 v80, v81, v80
	v_mul_f16_e32 v81, 0xb5ac, v8
	v_add_f16_e32 v70, v71, v70
	;; [unrolled: 2-line block ×3, first 2 shown]
	v_add_f16_e32 v12, v12, v25
	v_fma_f16 v13, v9, s20, v99
	v_mul_f16_e32 v92, 0xbb7b, v10
	v_mul_f16_e32 v78, 0xbbc4, v8
	;; [unrolled: 1-line block ×3, first 2 shown]
	v_sub_f16_e32 v71, v93, v71
	v_add_f16_e32 v63, v91, v63
	v_sub_f16_e32 v59, v59, v88
	v_add_f16_e32 v55, v6, v55
	v_add_f16_e32 v54, v81, v54
	;; [unrolled: 1-line block ×3, first 2 shown]
	v_add_f16_sdwa v13, v6, v13 dst_sel:DWORD dst_unused:UNUSED_PAD src0_sel:WORD_1 src1_sel:DWORD
	v_fma_f16 v22, v10, s22, v101
	v_mul_f16_e32 v90, 0xb3a8, v38
	v_mul_f16_e32 v93, 0xb5ac, v11
	v_add_f16_e32 v70, v71, v70
	v_mul_f16_e32 v71, 0xb9fd, v44
	v_add_f16_e32 v61, v78, v61
	v_add_f16_e32 v63, v6, v63
	v_add_f16_sdwa v59, v6, v59 dst_sel:DWORD dst_unused:UNUSED_PAD src0_sel:WORD_1 src1_sel:DWORD
	v_sub_f16_e32 v58, v58, v92
	v_add_f16_e32 v54, v54, v55
	v_add_f16_e32 v55, v84, v64
	;; [unrolled: 1-line block ×3, first 2 shown]
	v_fma_f16 v22, v38, s25, v102
	v_mul_f16_e32 v91, 0x394e, v46
	v_mul_f16_e32 v78, 0x3b15, v44
	v_add_f16_e32 v61, v61, v63
	v_mul_f16_e32 v63, 0x2fb7, v47
	v_add_f16_e32 v69, v93, v69
	v_add_f16_e32 v58, v58, v59
	v_sub_f16_e32 v59, v65, v90
	v_add_f16_e32 v54, v55, v54
	v_add_f16_e32 v55, v71, v68
	;; [unrolled: 1-line block ×3, first 2 shown]
	v_fma_f16 v22, v46, s28, v103
	v_mul_f16_e32 v93, 0x3bf1, v51
	v_add_f16_e32 v61, v69, v61
	v_add_f16_e32 v76, v78, v76
	v_mul_f16_e32 v78, 0x3b15, v53
	v_add_f16_e32 v58, v59, v58
	v_sub_f16_e32 v59, v73, v91
	v_add_f16_e32 v54, v55, v54
	v_add_f16_e32 v55, v63, v75
	;; [unrolled: 1-line block ×3, first 2 shown]
	v_fma_f16 v22, v51, s15, v104
	v_add_f16_e32 v61, v76, v61
	v_mul_f16_e32 v76, 0x3770, v57
	v_add_f16_e32 v58, v59, v58
	v_sub_f16_e32 v59, v79, v93
	v_add_f16_e32 v54, v55, v54
	v_add_f16_e32 v55, v78, v82
	v_mul_f16_e32 v52, 0x3b15, v52
	v_add_f16_e32 v13, v22, v13
	v_fma_f16 v22, v57, s23, v105
	v_add_f16_e32 v58, v59, v58
	v_sub_f16_e32 v59, v85, v76
	v_add_f16_e32 v54, v55, v54
	v_fma_f16 v55, v9, s22, v52
	v_mul_f16_e32 v50, 0x388b, v50
	v_add_f16_e32 v13, v22, v13
	v_fma_f16 v22, v7, s14, -v106
	v_add_f16_e32 v58, v59, v58
	v_add_f16_sdwa v55, v6, v55 dst_sel:DWORD dst_unused:UNUSED_PAD src0_sel:WORD_1 src1_sel:DWORD
	v_fma_f16 v59, v10, s28, v50
	v_add_f16_e32 v12, v12, v23
	v_add_f16_e32 v22, v6, v22
	v_fma_f16 v23, v8, s21, -v108
	v_add_f16_e32 v55, v59, v55
	v_mul_f16_e32 v59, 0x2fb7, v60
	v_add_f16_e32 v22, v23, v22
	v_fma_f16 v23, v11, s19, -v109
	v_fma_f16 v60, v38, s23, v59
	v_add_f16_e32 v22, v23, v22
	v_fma_f16 v23, v44, s8, -v110
	v_add_f16_e32 v55, v60, v55
	v_mul_f16_e32 v60, 0xb5ac, v66
	v_add_f16_e32 v22, v23, v22
	v_fma_f16 v23, v47, s9, -v111
	v_fma_f16 v63, v46, s27, v60
	v_add_f16_e32 v22, v23, v22
	v_fma_f16 v23, v53, s16, -v112
	v_add_f16_e32 v55, v63, v55
	v_mul_f16_e32 v63, 0xb9fd, v72
	v_add_f16_e32 v22, v23, v22
	v_fma_f16 v23, v9, s25, v113
	v_fma_f16 v64, v51, s24, v63
	v_add_f16_e32 v12, v12, v24
	v_add_f16_sdwa v23, v6, v23 dst_sel:DWORD dst_unused:UNUSED_PAD src0_sel:WORD_1 src1_sel:DWORD
	v_fma_f16 v24, v10, s23, v115
	v_add_f16_e32 v55, v64, v55
	v_mul_f16_e32 v64, 0xbbc4, v77
	v_add_f16_e32 v23, v24, v23
	v_fma_f16 v24, v38, s17, v116
	v_fma_f16 v65, v57, s26, v64
	v_mul_f16_e32 v49, 0xb770, v49
	v_add_f16_e32 v23, v24, v23
	v_fma_f16 v24, v46, s26, v117
	v_add_f16_e32 v55, v65, v55
	v_fma_f16 v65, v7, s21, v49
	v_mul_f16_e32 v48, 0xba95, v48
	v_add_f16_e32 v23, v24, v23
	v_fma_f16 v24, v51, s22, v118
	v_add_f16_e32 v65, v6, v65
	v_fma_f16 v66, v8, s8, v48
	v_mul_f16_e32 v56, 0xbbf1, v56
	v_add_f16_e32 v23, v24, v23
	v_fma_f16 v24, v57, s15, v119
	v_add_f16_e32 v65, v66, v65
	v_fma_f16 v66, v11, s16, v56
	v_mul_f16_e32 v62, 0xbb7b, v62
	v_add_f16_e32 v23, v24, v23
	v_fma_f16 v24, v7, s19, -v120
	v_fma_f16 v9, v9, s2, v52
	v_fma_f16 v7, v7, s21, -v49
	v_add_f16_e32 v65, v66, v65
	v_fma_f16 v66, v44, s9, v62
	v_add_f16_e32 v24, v6, v24
	v_add_f16_sdwa v9, v6, v9 dst_sel:DWORD dst_unused:UNUSED_PAD src0_sel:WORD_1 src1_sel:DWORD
	v_add_f16_e32 v6, v6, v7
	v_fma_f16 v7, v8, s8, -v48
	v_add_f16_e32 v65, v66, v65
	v_mul_f16_e32 v66, 0xb94e, v67
	v_add_f16_e32 v6, v7, v6
	v_fma_f16 v7, v11, s16, -v56
	v_fma_f16 v67, v47, s19, v66
	v_add_f16_e32 v6, v7, v6
	v_fma_f16 v7, v44, s9, -v62
	v_add_f16_e32 v65, v67, v65
	v_mul_f16_e32 v67, 0xb3a8, v74
	v_add_f16_e32 v6, v7, v6
	v_fma_f16 v7, v47, s19, -v66
	v_mul_f16_e32 v69, 0x388b, v47
	v_add_f16_e32 v6, v7, v6
	v_fma_f16 v7, v53, s14, -v67
	v_add_f16_e32 v69, v69, v83
	v_mul_f16_e32 v83, 0xb9fd, v53
	v_fma_f16 v68, v53, s14, v67
	v_fma_f16 v25, v8, s16, -v122
	v_add_f16_e32 v6, v7, v6
	v_mov_b32_e32 v7, 2
	v_add_f16_e32 v61, v69, v61
	v_add_f16_e32 v69, v83, v89
	;; [unrolled: 1-line block ×5, first 2 shown]
	v_fma_f16 v25, v11, s8, -v123
	v_fma_f16 v10, v10, s17, v50
	v_mul_u32_u24_e32 v0, 0x9c, v0
	v_lshlrev_b32_sdwa v7, v7, v14 dst_sel:DWORD dst_unused:UNUSED_PAD src0_sel:DWORD src1_sel:BYTE_0
	v_add_f16_e32 v61, v69, v61
	v_add_f16_e32 v24, v25, v24
	v_fma_f16 v25, v44, s14, -v124
	v_add_f16_e32 v9, v10, v9
	v_fma_f16 v10, v38, s18, v59
	v_add3_u32 v0, 0, v0, v7
	v_pack_b32_f16 v7, v26, v12
	v_pack_b32_f16 v8, v65, v55
	v_add_f16_e32 v24, v25, v24
	v_fma_f16 v25, v47, s21, -v125
	v_add_f16_e32 v9, v10, v9
	v_fma_f16 v10, v46, s15, v60
	ds_write2_b32 v0, v7, v8 offset1:3
	v_pack_b32_f16 v7, v54, v58
	v_pack_b32_f16 v8, v61, v70
	v_add_f16_e32 v24, v25, v24
	v_fma_f16 v25, v53, s9, -v126
	v_add_f16_e32 v9, v10, v9
	v_fma_f16 v10, v51, s25, v63
	ds_write2_b32 v0, v7, v8 offset0:6 offset1:9
	v_pack_b32_f16 v7, v80, v87
	v_pack_b32_f16 v8, v121, v114
	v_add_f16_e32 v24, v25, v24
	v_add_f16_e32 v9, v10, v9
	v_fma_f16 v10, v57, s20, v64
	ds_write2_b32 v0, v7, v8 offset0:12 offset1:15
	v_pack_b32_f16 v7, v107, v100
	v_pack_b32_f16 v8, v22, v13
	s_mov_b32 s2, 0x5040100
	v_add_f16_e32 v9, v10, v9
	ds_write2_b32 v0, v7, v8 offset0:18 offset1:21
	v_pack_b32_f16 v7, v24, v23
	v_perm_b32 v8, v20, v16, s2
	ds_write2_b32 v0, v7, v8 offset0:24 offset1:27
	v_perm_b32 v7, v21, v19, s2
	v_perm_b32 v8, v17, v15, s2
	v_pack_b32_f16 v6, v6, v9
	ds_write2_b32 v0, v7, v8 offset0:30 offset1:33
	ds_write_b32 v0, v6 offset:144
.LBB0_21:
	s_or_b64 exec, exec, s[6:7]
	v_lshl_add_u32 v0, v18, 2, 0
	v_add_u32_e32 v6, 0x300, v0
	v_add_u32_e32 v10, 0xc00, v0
	;; [unrolled: 1-line block ×3, first 2 shown]
	s_waitcnt lgkmcnt(0)
	s_barrier
	ds_read2_b32 v[8:9], v0 offset1:117
	ds_read2_b32 v[6:7], v6 offset0:42 offset1:237
	ds_read2_b32 v[10:11], v10 offset0:90 offset1:207
	ds_read2_b32 v[12:13], v12 offset0:34 offset1:151
	ds_read_b32 v14, v0 offset:4368
	s_and_saveexec_b64 s[2:3], vcc
	s_cbranch_execz .LBB0_23
; %bb.22:
	ds_read_b32 v16, v0 offset:1404
	ds_read_b32 v15, v0 offset:4836
	;; [unrolled: 1-line block ×3, first 2 shown]
	s_waitcnt lgkmcnt(2)
	v_lshrrev_b32_e32 v20, 16, v16
	s_waitcnt lgkmcnt(1)
	v_lshrrev_b32_e32 v17, 16, v15
	;; [unrolled: 2-line block ×3, first 2 shown]
.LBB0_23:
	s_or_b64 exec, exec, s[2:3]
	s_movk_i32 s2, 0xa5
	v_add_u16_e32 v24, 0x75, v18
	v_mul_lo_u16_sdwa v25, v24, s2 dst_sel:DWORD dst_unused:UNUSED_PAD src0_sel:BYTE_0 src1_sel:DWORD
	v_sub_u16_sdwa v27, v24, v25 dst_sel:DWORD dst_unused:UNUSED_PAD src0_sel:DWORD src1_sel:BYTE_1
	v_lshrrev_b16_e32 v27, 1, v27
	v_and_b32_e32 v27, 0x7f, v27
	v_add_u16_sdwa v25, v27, v25 dst_sel:DWORD dst_unused:UNUSED_PAD src0_sel:DWORD src1_sel:BYTE_1
	v_mul_lo_u16_sdwa v22, v18, s2 dst_sel:DWORD dst_unused:UNUSED_PAD src0_sel:BYTE_0 src1_sel:DWORD
	v_lshrrev_b16_e32 v25, 5, v25
	v_sub_u16_sdwa v23, v18, v22 dst_sel:DWORD dst_unused:UNUSED_PAD src0_sel:DWORD src1_sel:BYTE_1
	v_and_b32_e32 v30, 7, v25
	v_add_u32_e32 v26, 0xea, v18
	v_lshrrev_b16_e32 v23, 1, v23
	v_mul_lo_u16_e32 v25, 39, v30
	s_mov_b32 s8, 0xa41b
	v_and_b32_e32 v23, 0x7f, v23
	v_sub_u16_e32 v31, v24, v25
	v_mul_u32_u24_sdwa v25, v26, s8 dst_sel:DWORD dst_unused:UNUSED_PAD src0_sel:WORD_0 src1_sel:DWORD
	v_add_u16_sdwa v22, v23, v22 dst_sel:DWORD dst_unused:UNUSED_PAD src0_sel:DWORD src1_sel:BYTE_1
	v_sub_u16_sdwa v27, v26, v25 dst_sel:DWORD dst_unused:UNUSED_PAD src0_sel:DWORD src1_sel:WORD_1
	v_lshrrev_b16_e32 v22, 5, v22
	v_lshrrev_b16_e32 v27, 1, v27
	v_and_b32_e32 v28, 7, v22
	v_add_u16_sdwa v25, v27, v25 dst_sel:DWORD dst_unused:UNUSED_PAD src0_sel:DWORD src1_sel:WORD_1
	v_mul_lo_u16_e32 v22, 39, v28
	v_lshrrev_b16_e32 v32, 5, v25
	v_sub_u16_e32 v29, v18, v22
	v_mov_b32_e32 v22, 3
	v_mul_lo_u16_e32 v27, 39, v32
	v_lshlrev_b32_sdwa v23, v22, v29 dst_sel:DWORD dst_unused:UNUSED_PAD src0_sel:DWORD src1_sel:BYTE_0
	v_lshlrev_b32_sdwa v24, v22, v31 dst_sel:DWORD dst_unused:UNUSED_PAD src0_sel:DWORD src1_sel:BYTE_0
	v_sub_u16_e32 v33, v26, v27
	global_load_dwordx2 v[22:23], v23, s[12:13] offset:144
	v_lshlrev_b32_e32 v26, 3, v33
	global_load_dwordx2 v[24:25], v24, s[12:13] offset:144
	s_waitcnt lgkmcnt(3)
	v_lshrrev_b32_e32 v37, 16, v7
	global_load_dwordx2 v[26:27], v26, s[12:13] offset:144
	s_waitcnt lgkmcnt(2)
	v_lshrrev_b32_e32 v38, 16, v10
	s_waitcnt lgkmcnt(1)
	v_lshrrev_b32_e32 v39, 16, v12
	v_lshrrev_b32_e32 v40, 16, v11
	;; [unrolled: 1-line block ×3, first 2 shown]
	s_waitcnt lgkmcnt(0)
	v_lshrrev_b32_e32 v42, 16, v14
	v_lshrrev_b32_e32 v34, 16, v8
	;; [unrolled: 1-line block ×3, first 2 shown]
	s_mov_b32 s6, 0xbaee
	s_movk_i32 s7, 0x3aee
	v_lshrrev_b32_e32 v36, 16, v6
	s_movk_i32 s2, 0x1d4
	s_waitcnt vmcnt(0)
	s_barrier
	v_mul_f16_sdwa v43, v22, v37 dst_sel:DWORD dst_unused:UNUSED_PAD src0_sel:WORD_1 src1_sel:DWORD
	v_mul_f16_sdwa v44, v22, v7 dst_sel:DWORD dst_unused:UNUSED_PAD src0_sel:WORD_1 src1_sel:DWORD
	v_mul_f16_sdwa v45, v23, v38 dst_sel:DWORD dst_unused:UNUSED_PAD src0_sel:WORD_1 src1_sel:DWORD
	v_mul_f16_sdwa v46, v23, v10 dst_sel:DWORD dst_unused:UNUSED_PAD src0_sel:WORD_1 src1_sel:DWORD
	v_mul_f16_sdwa v47, v24, v39 dst_sel:DWORD dst_unused:UNUSED_PAD src0_sel:WORD_1 src1_sel:DWORD
	v_mul_f16_sdwa v48, v24, v12 dst_sel:DWORD dst_unused:UNUSED_PAD src0_sel:WORD_1 src1_sel:DWORD
	v_mul_f16_sdwa v49, v25, v40 dst_sel:DWORD dst_unused:UNUSED_PAD src0_sel:WORD_1 src1_sel:DWORD
	v_mul_f16_sdwa v50, v25, v11 dst_sel:DWORD dst_unused:UNUSED_PAD src0_sel:WORD_1 src1_sel:DWORD
	v_mul_f16_sdwa v51, v26, v41 dst_sel:DWORD dst_unused:UNUSED_PAD src0_sel:WORD_1 src1_sel:DWORD
	v_mul_f16_sdwa v52, v26, v13 dst_sel:DWORD dst_unused:UNUSED_PAD src0_sel:WORD_1 src1_sel:DWORD
	v_mul_f16_sdwa v53, v27, v42 dst_sel:DWORD dst_unused:UNUSED_PAD src0_sel:WORD_1 src1_sel:DWORD
	v_fma_f16 v7, v22, v7, v43
	v_fma_f16 v22, v22, v37, -v44
	v_fma_f16 v10, v23, v10, v45
	v_fma_f16 v23, v23, v38, -v46
	;; [unrolled: 2-line block ×4, first 2 shown]
	v_mul_f16_sdwa v54, v27, v14 dst_sel:DWORD dst_unused:UNUSED_PAD src0_sel:WORD_1 src1_sel:DWORD
	v_fma_f16 v13, v26, v13, v51
	v_fma_f16 v26, v26, v41, -v52
	v_fma_f16 v14, v27, v14, v53
	v_add_f16_e32 v38, v7, v10
	v_sub_f16_e32 v39, v22, v23
	v_add_f16_e32 v40, v34, v22
	v_add_f16_e32 v22, v22, v23
	;; [unrolled: 1-line block ×3, first 2 shown]
	v_sub_f16_e32 v43, v24, v25
	v_add_f16_e32 v44, v35, v24
	v_add_f16_e32 v24, v24, v25
	v_fma_f16 v27, v27, v42, -v54
	v_add_f16_e32 v37, v8, v7
	v_add_f16_e32 v42, v12, v11
	v_fma_f16 v8, v38, -0.5, v8
	v_fma_f16 v22, v22, -0.5, v34
	v_add_f16_e32 v34, v41, v11
	v_fma_f16 v24, v24, -0.5, v35
	v_sub_f16_e32 v11, v12, v11
	v_add_f16_e32 v38, v13, v14
	v_fma_f16 v12, v11, s7, v24
	v_fma_f16 v11, v11, s6, v24
	v_add_f16_e32 v24, v6, v13
	v_fma_f16 v6, v38, -0.5, v6
	v_sub_f16_e32 v38, v26, v27
	v_fma_f16 v35, v39, s6, v8
	v_fma_f16 v8, v39, s7, v8
	;; [unrolled: 1-line block ×4, first 2 shown]
	v_add_f16_e32 v38, v36, v26
	v_add_f16_e32 v26, v26, v27
	v_sub_f16_e32 v7, v7, v10
	v_add_f16_e32 v38, v38, v27
	v_fma_f16 v26, v26, -0.5, v36
	v_sub_f16_e32 v13, v13, v14
	v_mov_b32_e32 v27, 2
	v_add_f16_e32 v10, v37, v10
	v_fma_f16 v37, v7, s7, v22
	v_fma_f16 v7, v7, s6, v22
	v_add_f16_e32 v24, v24, v14
	v_fma_f16 v14, v13, s7, v26
	v_fma_f16 v13, v13, s6, v26
	v_mul_u32_u24_sdwa v26, v28, s2 dst_sel:DWORD dst_unused:UNUSED_PAD src0_sel:WORD_0 src1_sel:DWORD
	v_lshlrev_b32_sdwa v28, v27, v29 dst_sel:DWORD dst_unused:UNUSED_PAD src0_sel:DWORD src1_sel:BYTE_0
	v_add_f16_e32 v23, v40, v23
	v_fma_f16 v9, v42, -0.5, v9
	v_add3_u32 v26, 0, v26, v28
	v_pack_b32_f16 v7, v8, v7
	v_add_f16_e32 v25, v44, v25
	v_fma_f16 v22, v43, s6, v9
	v_pack_b32_f16 v10, v10, v23
	v_pack_b32_f16 v23, v35, v37
	ds_write_b32 v26, v7 offset:312
	v_mul_u32_u24_sdwa v7, v30, s2 dst_sel:DWORD dst_unused:UNUSED_PAD src0_sel:WORD_0 src1_sel:DWORD
	v_lshlrev_b32_sdwa v8, v27, v31 dst_sel:DWORD dst_unused:UNUSED_PAD src0_sel:DWORD src1_sel:BYTE_0
	v_fma_f16 v9, v43, s7, v9
	ds_write2_b32 v26, v10, v23 offset1:39
	v_add3_u32 v7, 0, v7, v8
	v_pack_b32_f16 v8, v34, v25
	v_pack_b32_f16 v10, v22, v12
	ds_write2_b32 v7, v8, v10 offset1:39
	v_pack_b32_f16 v8, v9, v11
	ds_write_b32 v7, v8 offset:312
	v_mul_u32_u24_e32 v7, 0x1d4, v32
	v_lshlrev_b32_e32 v8, 2, v33
	v_add3_u32 v7, 0, v7, v8
	v_pack_b32_f16 v8, v24, v38
	v_pack_b32_f16 v9, v39, v14
	;; [unrolled: 1-line block ×3, first 2 shown]
	ds_write2_b32 v7, v8, v9 offset1:39
	ds_write_b32 v7, v6 offset:312
	s_and_saveexec_b64 s[2:3], vcc
	s_cbranch_execz .LBB0_25
; %bb.24:
	v_add_u32_e32 v6, 0x15f, v18
	v_mul_u32_u24_sdwa v7, v6, s8 dst_sel:DWORD dst_unused:UNUSED_PAD src0_sel:WORD_0 src1_sel:DWORD
	v_sub_u16_sdwa v8, v6, v7 dst_sel:DWORD dst_unused:UNUSED_PAD src0_sel:DWORD src1_sel:WORD_1
	v_lshrrev_b16_e32 v8, 1, v8
	v_add_u16_sdwa v7, v8, v7 dst_sel:DWORD dst_unused:UNUSED_PAD src0_sel:DWORD src1_sel:WORD_1
	v_lshrrev_b16_e32 v8, 5, v7
	v_mul_lo_u16_e32 v7, 39, v8
	v_sub_u16_e32 v9, v6, v7
	v_lshlrev_b32_e32 v6, 3, v9
	global_load_dwordx2 v[6:7], v6, s[12:13] offset:144
	v_mul_lo_u16_e32 v8, 0x75, v8
	v_lshlrev_b32_e32 v8, 2, v8
	v_lshlrev_b32_e32 v9, 2, v9
	v_add3_u32 v8, 0, v9, v8
	s_waitcnt vmcnt(0)
	v_mul_f16_sdwa v9, v19, v6 dst_sel:DWORD dst_unused:UNUSED_PAD src0_sel:DWORD src1_sel:WORD_1
	v_mul_f16_sdwa v10, v15, v7 dst_sel:DWORD dst_unused:UNUSED_PAD src0_sel:DWORD src1_sel:WORD_1
	;; [unrolled: 1-line block ×4, first 2 shown]
	v_fma_f16 v9, v21, v6, -v9
	v_fma_f16 v10, v17, v7, -v10
	v_fma_f16 v6, v19, v6, v11
	v_fma_f16 v7, v15, v7, v12
	v_add_f16_e32 v11, v9, v10
	v_add_f16_e32 v13, v20, v9
	;; [unrolled: 1-line block ×3, first 2 shown]
	v_sub_f16_e32 v12, v6, v7
	v_sub_f16_e32 v9, v9, v10
	v_add_f16_e32 v6, v16, v6
	v_fma_f16 v11, v11, -0.5, v20
	v_add_f16_e32 v10, v13, v10
	v_fma_f16 v13, v14, -0.5, v16
	v_add_f16_e32 v6, v6, v7
	v_fma_f16 v7, v12, s6, v11
	v_fma_f16 v11, v12, s7, v11
	;; [unrolled: 1-line block ×4, first 2 shown]
	v_pack_b32_f16 v6, v6, v10
	v_pack_b32_f16 v9, v9, v11
	;; [unrolled: 1-line block ×3, first 2 shown]
	ds_write2_b32 v8, v6, v9 offset1:39
	ds_write_b32 v8, v7 offset:312
.LBB0_25:
	s_or_b64 exec, exec, s[2:3]
	s_waitcnt lgkmcnt(0)
	s_barrier
	s_and_saveexec_b64 s[2:3], s[0:1]
	s_cbranch_execz .LBB0_27
; %bb.26:
	v_mul_u32_u24_e32 v6, 10, v18
	v_lshlrev_b32_e32 v16, 2, v6
	global_load_dwordx4 v[6:9], v16, s[12:13] offset:456
	global_load_dwordx2 v[14:15], v16, s[12:13] offset:488
	global_load_dwordx4 v[10:13], v16, s[12:13] offset:472
	v_mul_lo_u32 v26, s5, v4
	v_mul_lo_u32 v27, s4, v5
	v_mad_u64_u32 v[16:17], s[0:1], s4, v4, 0
	ds_read2_b32 v[4:5], v0 offset1:117
	ds_read_b32 v28, v0 offset:4680
	v_add_u32_e32 v18, 0x200, v0
	v_add_u32_e32 v20, 0xe00, v0
	;; [unrolled: 1-line block ×4, first 2 shown]
	ds_read2_b32 v[18:19], v18 offset0:106 offset1:223
	ds_read2_b32 v[20:21], v20 offset0:40 offset1:157
	;; [unrolled: 1-line block ×4, first 2 shown]
	v_add3_u32 v17, v17, v27, v26
	s_waitcnt lgkmcnt(5)
	v_lshrrev_b32_e32 v0, 16, v5
	s_waitcnt lgkmcnt(4)
	v_lshrrev_b32_e32 v26, 16, v28
	;; [unrolled: 2-line block ×4, first 2 shown]
	v_lshrrev_b32_e32 v30, 16, v19
	v_lshrrev_b32_e32 v31, 16, v20
	s_mov_b32 s0, 0xbbad
	s_waitcnt lgkmcnt(1)
	v_lshrrev_b32_e32 v32, 16, v22
	s_waitcnt lgkmcnt(0)
	v_lshrrev_b32_e32 v33, 16, v25
	s_movk_i32 s2, 0x3abb
	s_mov_b32 s3, 0xb93d
	v_lshrrev_b32_e32 v34, 16, v23
	s_movk_i32 s6, 0x36a6
	s_mov_b32 s8, 0xb08e
	s_movk_i32 s12, 0x3a0c
	s_mov_b32 s9, 0xbbeb
	s_movk_i32 s5, 0x3853
	s_movk_i32 s13, 0x3482
	s_mov_b32 s14, 0xbb47
	s_movk_i32 s15, 0x3beb
	s_mov_b32 s1, 0xb482
	s_mov_b32 s4, 0xba0c
	;; [unrolled: 1-line block ×3, first 2 shown]
	s_movk_i32 s7, 0x3b47
	s_waitcnt vmcnt(2)
	v_mul_f16_sdwa v35, v6, v0 dst_sel:DWORD dst_unused:UNUSED_PAD src0_sel:WORD_1 src1_sel:DWORD
	s_waitcnt vmcnt(1)
	v_mul_f16_sdwa v36, v15, v26 dst_sel:DWORD dst_unused:UNUSED_PAD src0_sel:WORD_1 src1_sel:DWORD
	v_mul_f16_sdwa v37, v28, v15 dst_sel:DWORD dst_unused:UNUSED_PAD src0_sel:DWORD src1_sel:WORD_1
	v_mul_f16_sdwa v38, v6, v5 dst_sel:DWORD dst_unused:UNUSED_PAD src0_sel:WORD_1 src1_sel:DWORD
	v_mul_f16_sdwa v39, v7, v27 dst_sel:DWORD dst_unused:UNUSED_PAD src0_sel:WORD_1 src1_sel:DWORD
	;; [unrolled: 1-line block ×3, first 2 shown]
	v_fma_f16 v5, v6, v5, v35
	v_fma_f16 v28, v15, v28, v36
	v_mul_f16_sdwa v41, v21, v14 dst_sel:DWORD dst_unused:UNUSED_PAD src0_sel:DWORD src1_sel:WORD_1
	v_mul_f16_sdwa v42, v7, v18 dst_sel:DWORD dst_unused:UNUSED_PAD src0_sel:WORD_1 src1_sel:DWORD
	v_mul_f16_sdwa v43, v8, v30 dst_sel:DWORD dst_unused:UNUSED_PAD src0_sel:WORD_1 src1_sel:DWORD
	s_waitcnt vmcnt(0)
	v_mul_f16_sdwa v44, v13, v31 dst_sel:DWORD dst_unused:UNUSED_PAD src0_sel:WORD_1 src1_sel:DWORD
	v_fma_f16 v15, v15, v26, -v37
	v_fma_f16 v0, v6, v0, -v38
	v_fma_f16 v6, v7, v18, v39
	v_fma_f16 v18, v14, v21, v40
	v_sub_f16_e32 v26, v5, v28
	v_mul_f16_sdwa v45, v20, v13 dst_sel:DWORD dst_unused:UNUSED_PAD src0_sel:DWORD src1_sel:WORD_1
	v_mul_f16_sdwa v46, v8, v19 dst_sel:DWORD dst_unused:UNUSED_PAD src0_sel:WORD_1 src1_sel:DWORD
	v_fma_f16 v14, v14, v29, -v41
	v_fma_f16 v7, v7, v27, -v42
	v_fma_f16 v19, v8, v19, v43
	v_fma_f16 v20, v13, v20, v44
	v_add_f16_e32 v27, v0, v15
	v_sub_f16_e32 v29, v6, v18
	v_mul_f16_e32 v36, 0xb482, v26
	v_mul_f16_sdwa v47, v9, v32 dst_sel:DWORD dst_unused:UNUSED_PAD src0_sel:WORD_1 src1_sel:DWORD
	v_mul_f16_sdwa v48, v12, v33 dst_sel:DWORD dst_unused:UNUSED_PAD src0_sel:WORD_1 src1_sel:DWORD
	;; [unrolled: 1-line block ×3, first 2 shown]
	v_fma_f16 v13, v13, v31, -v45
	v_fma_f16 v8, v8, v30, -v46
	v_add_f16_e32 v30, v7, v14
	v_sub_f16_e32 v31, v19, v20
	v_mul_f16_e32 v37, 0x3853, v29
	v_fma_f16 v40, v27, s0, v36
	v_mul_f16_sdwa v49, v25, v12 dst_sel:DWORD dst_unused:UNUSED_PAD src0_sel:DWORD src1_sel:WORD_1
	v_fma_f16 v21, v9, v22, v47
	v_fma_f16 v22, v12, v25, v48
	v_fma_f16 v9, v9, v32, -v50
	v_add_f16_e32 v32, v8, v13
	v_mul_f16_e32 v38, 0xba0c, v31
	v_fma_f16 v41, v30, s2, v37
	v_add_f16_sdwa v40, v40, v4 dst_sel:DWORD dst_unused:UNUSED_PAD src0_sel:DWORD src1_sel:WORD_1
	v_fma_f16 v12, v12, v33, -v49
	v_sub_f16_e32 v33, v21, v22
	v_fma_f16 v42, v32, s3, v38
	v_add_f16_e32 v40, v40, v41
	v_lshrrev_b32_e32 v41, 16, v24
	v_mul_f16_sdwa v51, v10, v34 dst_sel:DWORD dst_unused:UNUSED_PAD src0_sel:WORD_1 src1_sel:DWORD
	v_add_f16_e32 v35, v9, v12
	v_mul_f16_e32 v39, 0x3b47, v33
	v_add_f16_e32 v40, v40, v42
	v_mul_f16_sdwa v42, v11, v41 dst_sel:DWORD dst_unused:UNUSED_PAD src0_sel:WORD_1 src1_sel:DWORD
	v_fma_f16 v25, v10, v23, v51
	v_fma_f16 v43, v35, s6, v39
	;; [unrolled: 1-line block ×3, first 2 shown]
	v_mul_f16_sdwa v24, v24, v11 dst_sel:DWORD dst_unused:UNUSED_PAD src0_sel:DWORD src1_sel:WORD_1
	v_mul_f16_sdwa v23, v10, v23 dst_sel:DWORD dst_unused:UNUSED_PAD src0_sel:WORD_1 src1_sel:DWORD
	v_add_f16_e32 v40, v40, v43
	v_sub_f16_e32 v43, v25, v42
	v_fma_f16 v11, v11, v41, -v24
	v_fma_f16 v10, v10, v34, -v23
	v_mul_f16_e32 v44, 0xbbeb, v43
	v_add_f16_e32 v23, v10, v11
	v_fma_f16 v24, v23, s8, v44
	v_add_f16_e32 v24, v40, v24
	v_sub_f16_e32 v40, v0, v15
	v_fma_f16 v36, v27, s0, -v36
	v_add_f16_e32 v34, v5, v28
	v_mul_f16_e32 v41, 0xb482, v40
	v_sub_f16_e32 v47, v7, v14
	v_add_f16_sdwa v36, v36, v4 dst_sel:DWORD dst_unused:UNUSED_PAD src0_sel:DWORD src1_sel:WORD_1
	v_fma_f16 v37, v30, s2, -v37
	v_fma_f16 v45, v34, s0, -v41
	v_add_f16_e32 v46, v6, v18
	v_mul_f16_e32 v48, 0x3853, v47
	v_add_f16_e32 v36, v36, v37
	v_fma_f16 v37, v32, s3, -v38
	v_add_f16_e32 v45, v45, v4
	v_fma_f16 v49, v46, s2, -v48
	v_sub_f16_e32 v50, v8, v13
	v_add_f16_e32 v36, v36, v37
	v_fma_f16 v37, v35, s6, -v39
	v_add_f16_e32 v45, v45, v49
	v_add_f16_e32 v49, v19, v20
	v_mul_f16_e32 v51, 0xba0c, v50
	v_add_f16_e32 v36, v36, v37
	v_fma_f16 v37, v23, s8, -v44
	v_fma_f16 v52, v49, s3, -v51
	v_sub_f16_e32 v53, v9, v12
	v_add_f16_e32 v36, v36, v37
	v_fma_f16 v37, v34, s0, v41
	v_add_f16_e32 v45, v45, v52
	v_add_f16_e32 v52, v21, v22
	v_mul_f16_e32 v54, 0x3b47, v53
	v_add_f16_e32 v37, v37, v4
	v_fma_f16 v38, v46, s2, v48
	v_fma_f16 v55, v52, s6, -v54
	v_sub_f16_e32 v56, v10, v11
	v_add_f16_e32 v37, v37, v38
	v_fma_f16 v38, v49, s3, v51
	v_add_f16_e32 v45, v45, v55
	v_add_f16_e32 v55, v25, v42
	v_mul_f16_e32 v57, 0xbbeb, v56
	v_add_f16_e32 v37, v37, v38
	v_fma_f16 v38, v52, s6, v54
	v_add_f16_e32 v37, v37, v38
	v_fma_f16 v38, v55, s8, v57
	v_add_f16_e32 v37, v37, v38
	v_mul_f16_e32 v38, 0xb93d, v27
	v_fma_f16 v39, v26, s12, v38
	v_mul_f16_e32 v41, 0xb08e, v30
	v_add_f16_sdwa v39, v39, v4 dst_sel:DWORD dst_unused:UNUSED_PAD src0_sel:DWORD src1_sel:WORD_1
	v_fma_f16 v44, v29, s9, v41
	v_add_f16_e32 v39, v39, v44
	v_mul_f16_e32 v44, 0x3abb, v32
	v_fma_f16 v48, v31, s5, v44
	v_add_f16_e32 v39, v39, v48
	v_mul_f16_e32 v48, 0xbbad, v35
	;; [unrolled: 3-line block ×3, first 2 shown]
	v_fma_f16 v54, v43, s14, v51
	v_fma_f16 v58, v55, s8, -v57
	v_add_f16_e32 v39, v39, v54
	v_mul_f16_e32 v54, 0xba0c, v40
	v_add_f16_e32 v45, v45, v58
	v_fma_f16 v57, v34, s3, v54
	v_mul_f16_e32 v58, 0x3beb, v47
	v_add_f16_e32 v57, v57, v4
	v_fma_f16 v59, v46, s8, v58
	v_add_f16_e32 v57, v57, v59
	v_mul_f16_e32 v59, 0xb853, v50
	v_fma_f16 v60, v49, s2, v59
	v_add_f16_e32 v57, v57, v60
	v_mul_f16_e32 v60, 0xb482, v53
	v_fma_f16 v61, v52, s0, v60
	v_add_f16_sdwa v0, v0, v4 dst_sel:DWORD dst_unused:UNUSED_PAD src0_sel:DWORD src1_sel:WORD_1
	v_add_f16_e32 v57, v57, v61
	v_mul_f16_e32 v61, 0x3b47, v56
	v_add_f16_e32 v5, v5, v4
	v_add_f16_e32 v0, v0, v7
	v_fma_f16 v62, v55, s6, v61
	v_add_f16_e32 v5, v5, v6
	v_add_f16_e32 v0, v0, v8
	;; [unrolled: 1-line block ×3, first 2 shown]
	v_mul_f16_e32 v62, 0xb08e, v27
	v_add_f16_e32 v5, v5, v19
	v_add_f16_e32 v0, v0, v9
	v_fma_f16 v63, v26, s15, v62
	v_mul_f16_e32 v64, 0xbbad, v30
	v_add_f16_e32 v5, v5, v21
	v_add_f16_e32 v0, v0, v10
	v_add_f16_sdwa v63, v63, v4 dst_sel:DWORD dst_unused:UNUSED_PAD src0_sel:DWORD src1_sel:WORD_1
	v_fma_f16 v65, v29, s1, v64
	v_add_f16_e32 v5, v5, v25
	v_add_f16_e32 v0, v0, v11
	;; [unrolled: 1-line block ×3, first 2 shown]
	v_mul_f16_e32 v65, 0x36a6, v32
	v_add_f16_e32 v5, v5, v42
	v_add_f16_e32 v0, v12, v0
	v_fma_f16 v66, v31, s14, v65
	v_add_f16_e32 v5, v22, v5
	v_add_f16_e32 v0, v13, v0
	;; [unrolled: 1-line block ×3, first 2 shown]
	v_mul_f16_e32 v66, 0x3abb, v35
	v_add_f16_e32 v5, v20, v5
	v_add_f16_e32 v0, v14, v0
	v_fma_f16 v67, v33, s5, v66
	v_add_f16_e32 v5, v18, v5
	v_add_f16_e32 v7, v15, v0
	v_fma_f16 v0, v26, s4, v38
	v_add_f16_e32 v63, v63, v67
	v_mul_f16_e32 v67, 0xb93d, v23
	v_add_f16_e32 v18, v28, v5
	v_add_f16_sdwa v0, v0, v4 dst_sel:DWORD dst_unused:UNUSED_PAD src0_sel:DWORD src1_sel:WORD_1
	v_fma_f16 v5, v29, s15, v41
	v_fma_f16 v68, v43, s12, v67
	v_add_f16_e32 v0, v0, v5
	v_fma_f16 v5, v31, s16, v44
	v_add_f16_e32 v63, v63, v68
	v_mul_f16_e32 v68, 0xbbeb, v40
	v_add_f16_e32 v0, v0, v5
	v_fma_f16 v5, v33, s1, v48
	v_fma_f16 v69, v34, s8, v68
	v_mul_f16_e32 v70, 0x3482, v47
	v_add_f16_e32 v0, v0, v5
	v_fma_f16 v5, v43, s7, v51
	v_add_f16_e32 v69, v69, v4
	v_fma_f16 v71, v46, s0, v70
	v_add_f16_e32 v8, v0, v5
	v_fma_f16 v0, v34, s3, -v54
	v_add_f16_e32 v69, v69, v71
	v_mul_f16_e32 v71, 0x3b47, v50
	v_add_f16_e32 v0, v0, v4
	v_fma_f16 v5, v46, s8, -v58
	v_fma_f16 v72, v49, s6, v71
	v_add_f16_e32 v0, v0, v5
	v_fma_f16 v5, v49, s2, -v59
	v_add_f16_e32 v69, v69, v72
	v_mul_f16_e32 v72, 0xb853, v53
	v_add_f16_e32 v0, v0, v5
	v_fma_f16 v5, v52, s0, -v60
	v_fma_f16 v73, v52, s2, v72
	v_add_f16_e32 v0, v0, v5
	v_fma_f16 v5, v55, s6, -v61
	v_add_f16_e32 v69, v69, v73
	v_mul_f16_e32 v73, 0xba0c, v56
	v_add_f16_e32 v9, v0, v5
	v_fma_f16 v0, v26, s9, v62
	v_fma_f16 v74, v55, s3, v73
	v_add_f16_sdwa v0, v0, v4 dst_sel:DWORD dst_unused:UNUSED_PAD src0_sel:DWORD src1_sel:WORD_1
	v_fma_f16 v5, v29, s13, v64
	v_add_f16_e32 v69, v69, v74
	v_mul_f16_e32 v74, 0x36a6, v27
	v_add_f16_e32 v0, v0, v5
	v_fma_f16 v5, v31, s7, v65
	v_fma_f16 v75, v26, s7, v74
	v_mul_f16_e32 v76, 0xb93d, v30
	v_add_f16_e32 v0, v0, v5
	v_fma_f16 v5, v33, s16, v66
	v_add_f16_sdwa v75, v75, v4 dst_sel:DWORD dst_unused:UNUSED_PAD src0_sel:DWORD src1_sel:WORD_1
	v_fma_f16 v77, v29, s12, v76
	v_add_f16_e32 v0, v0, v5
	v_fma_f16 v5, v43, s4, v67
	v_add_f16_e32 v75, v75, v77
	v_mul_f16_e32 v77, 0xbbad, v32
	v_add_f16_e32 v10, v0, v5
	v_fma_f16 v0, v34, s8, -v68
	v_fma_f16 v78, v31, s1, v77
	v_add_f16_e32 v0, v0, v4
	v_fma_f16 v5, v46, s0, -v70
	v_add_f16_e32 v75, v75, v78
	v_mul_f16_e32 v78, 0xb08e, v35
	v_add_f16_e32 v0, v0, v5
	v_fma_f16 v5, v49, s6, -v71
	v_fma_f16 v79, v33, s9, v78
	v_add_f16_e32 v0, v0, v5
	v_fma_f16 v5, v52, s2, -v72
	v_add_f16_e32 v75, v75, v79
	v_mul_f16_e32 v79, 0x3abb, v23
	v_add_f16_e32 v0, v0, v5
	v_fma_f16 v5, v55, s3, -v73
	v_fma_f16 v80, v43, s16, v79
	v_add_f16_e32 v11, v0, v5
	v_fma_f16 v0, v26, s14, v74
	v_add_f16_e32 v75, v75, v80
	v_mul_f16_e32 v80, 0xbb47, v40
	v_add_f16_sdwa v0, v0, v4 dst_sel:DWORD dst_unused:UNUSED_PAD src0_sel:DWORD src1_sel:WORD_1
	v_fma_f16 v5, v29, s4, v76
	v_fma_f16 v81, v34, s6, v80
	v_mul_f16_e32 v82, 0xba0c, v47
	v_add_f16_e32 v0, v0, v5
	v_fma_f16 v5, v31, s13, v77
	v_add_f16_e32 v81, v81, v4
	v_fma_f16 v83, v46, s3, v82
	;; [unrolled: 2-line block ×3, first 2 shown]
	v_add_f16_e32 v81, v81, v83
	v_mul_f16_e32 v83, 0x3482, v50
	v_add_f16_e32 v0, v0, v5
	v_fma_f16 v5, v43, s5, v79
	v_fma_f16 v84, v49, s0, v83
	v_add_f16_e32 v12, v0, v5
	v_fma_f16 v0, v34, s6, -v80
	v_add_f16_e32 v81, v81, v84
	v_mul_f16_e32 v84, 0x3beb, v53
	v_add_f16_e32 v0, v0, v4
	v_fma_f16 v5, v46, s3, -v82
	v_fma_f16 v85, v52, s8, v84
	v_add_f16_e32 v0, v0, v5
	v_fma_f16 v5, v49, s0, -v83
	v_add_f16_e32 v81, v81, v85
	v_mul_f16_e32 v85, 0x3853, v56
	v_add_f16_e32 v0, v0, v5
	v_fma_f16 v5, v52, s8, -v84
	v_fma_f16 v86, v55, s2, v85
	v_mul_f16_e32 v27, 0x3abb, v27
	v_add_f16_e32 v0, v0, v5
	v_fma_f16 v5, v55, s2, -v85
	v_add_f16_e32 v81, v81, v86
	v_fma_f16 v86, v26, s5, v27
	v_mul_f16_e32 v30, 0x36a6, v30
	v_add_f16_e32 v13, v0, v5
	v_fma_f16 v0, v26, s16, v27
	v_add_f16_sdwa v86, v86, v4 dst_sel:DWORD dst_unused:UNUSED_PAD src0_sel:DWORD src1_sel:WORD_1
	v_fma_f16 v87, v29, s7, v30
	v_mul_f16_e32 v32, 0xb08e, v32
	v_add_f16_sdwa v0, v0, v4 dst_sel:DWORD dst_unused:UNUSED_PAD src0_sel:DWORD src1_sel:WORD_1
	v_fma_f16 v5, v29, s14, v30
	v_add_f16_e32 v86, v86, v87
	v_fma_f16 v87, v31, s15, v32
	v_mul_f16_e32 v35, 0xb93d, v35
	v_add_f16_e32 v0, v0, v5
	v_fma_f16 v5, v31, s9, v32
	v_add_f16_e32 v86, v86, v87
	v_fma_f16 v87, v33, s12, v35
	v_mul_f16_e32 v23, 0xbbad, v23
	v_add_f16_e32 v0, v0, v5
	;; [unrolled: 5-line block ×4, first 2 shown]
	v_fma_f16 v0, v34, s2, -v40
	v_add_f16_e32 v87, v87, v4
	v_mul_f16_e32 v50, 0xbbeb, v50
	v_add_f16_e32 v0, v0, v4
	v_fma_f16 v4, v46, s6, -v47
	v_mul_f16_e32 v53, 0xba0c, v53
	v_add_f16_e32 v0, v0, v4
	v_fma_f16 v4, v49, s8, -v50
	;; [unrolled: 3-line block ×3, first 2 shown]
	v_lshlrev_b64 v[5:6], 2, v[16:17]
	v_add_f16_e32 v0, v0, v4
	v_fma_f16 v4, v55, s0, -v56
	v_add_f16_e32 v15, v0, v4
	v_mov_b32_e32 v0, s11
	v_add_co_u32_e32 v5, vcc, s10, v5
	v_addc_co_u32_e32 v6, vcc, v0, v6, vcc
	v_lshlrev_b64 v[0:1], 2, v[1:2]
	v_fma_f16 v88, v46, s6, v47
	v_mov_b32_e32 v4, 0
	v_add_co_u32_e32 v2, vcc, v5, v0
	v_add_f16_e32 v87, v87, v88
	v_fma_f16 v88, v49, s8, v50
	v_addc_co_u32_e32 v5, vcc, v6, v1, vcc
	v_lshlrev_b64 v[0:1], 2, v[3:4]
	v_add_f16_e32 v87, v87, v88
	v_fma_f16 v88, v52, s3, v53
	v_add_f16_e32 v87, v87, v88
	v_fma_f16 v88, v55, s0, v56
	v_add_co_u32_e32 v0, vcc, v2, v0
	v_add_f16_e32 v87, v87, v88
	v_addc_co_u32_e32 v1, vcc, v5, v1, vcc
	v_pack_b32_f16 v2, v18, v7
	global_store_dword v[0:1], v2, off
	v_pack_b32_f16 v2, v87, v86
	global_store_dword v[0:1], v2, off offset:468
	v_pack_b32_f16 v2, v81, v75
	global_store_dword v[0:1], v2, off offset:936
	;; [unrolled: 2-line block ×8, first 2 shown]
	v_add_co_u32_e32 v0, vcc, 0x1000, v0
	v_pack_b32_f16 v2, v13, v12
	v_addc_co_u32_e32 v1, vcc, 0, v1, vcc
	global_store_dword v[0:1], v2, off offset:116
	v_pack_b32_f16 v2, v15, v14
	global_store_dword v[0:1], v2, off offset:584
.LBB0_27:
	s_endpgm
	.section	.rodata,"a",@progbits
	.p2align	6, 0x0
	.amdhsa_kernel fft_rtc_back_len1287_factors_3_13_3_11_wgs_117_tpt_117_half_op_CI_CI_unitstride_sbrr_dirReg
		.amdhsa_group_segment_fixed_size 0
		.amdhsa_private_segment_fixed_size 0
		.amdhsa_kernarg_size 104
		.amdhsa_user_sgpr_count 6
		.amdhsa_user_sgpr_private_segment_buffer 1
		.amdhsa_user_sgpr_dispatch_ptr 0
		.amdhsa_user_sgpr_queue_ptr 0
		.amdhsa_user_sgpr_kernarg_segment_ptr 1
		.amdhsa_user_sgpr_dispatch_id 0
		.amdhsa_user_sgpr_flat_scratch_init 0
		.amdhsa_user_sgpr_private_segment_size 0
		.amdhsa_uses_dynamic_stack 0
		.amdhsa_system_sgpr_private_segment_wavefront_offset 0
		.amdhsa_system_sgpr_workgroup_id_x 1
		.amdhsa_system_sgpr_workgroup_id_y 0
		.amdhsa_system_sgpr_workgroup_id_z 0
		.amdhsa_system_sgpr_workgroup_info 0
		.amdhsa_system_vgpr_workitem_id 0
		.amdhsa_next_free_vgpr 128
		.amdhsa_next_free_sgpr 29
		.amdhsa_reserve_vcc 1
		.amdhsa_reserve_flat_scratch 0
		.amdhsa_float_round_mode_32 0
		.amdhsa_float_round_mode_16_64 0
		.amdhsa_float_denorm_mode_32 3
		.amdhsa_float_denorm_mode_16_64 3
		.amdhsa_dx10_clamp 1
		.amdhsa_ieee_mode 1
		.amdhsa_fp16_overflow 0
		.amdhsa_exception_fp_ieee_invalid_op 0
		.amdhsa_exception_fp_denorm_src 0
		.amdhsa_exception_fp_ieee_div_zero 0
		.amdhsa_exception_fp_ieee_overflow 0
		.amdhsa_exception_fp_ieee_underflow 0
		.amdhsa_exception_fp_ieee_inexact 0
		.amdhsa_exception_int_div_zero 0
	.end_amdhsa_kernel
	.text
.Lfunc_end0:
	.size	fft_rtc_back_len1287_factors_3_13_3_11_wgs_117_tpt_117_half_op_CI_CI_unitstride_sbrr_dirReg, .Lfunc_end0-fft_rtc_back_len1287_factors_3_13_3_11_wgs_117_tpt_117_half_op_CI_CI_unitstride_sbrr_dirReg
                                        ; -- End function
	.section	.AMDGPU.csdata,"",@progbits
; Kernel info:
; codeLenInByte = 9684
; NumSgprs: 33
; NumVgprs: 128
; ScratchSize: 0
; MemoryBound: 0
; FloatMode: 240
; IeeeMode: 1
; LDSByteSize: 0 bytes/workgroup (compile time only)
; SGPRBlocks: 4
; VGPRBlocks: 31
; NumSGPRsForWavesPerEU: 33
; NumVGPRsForWavesPerEU: 128
; Occupancy: 2
; WaveLimiterHint : 1
; COMPUTE_PGM_RSRC2:SCRATCH_EN: 0
; COMPUTE_PGM_RSRC2:USER_SGPR: 6
; COMPUTE_PGM_RSRC2:TRAP_HANDLER: 0
; COMPUTE_PGM_RSRC2:TGID_X_EN: 1
; COMPUTE_PGM_RSRC2:TGID_Y_EN: 0
; COMPUTE_PGM_RSRC2:TGID_Z_EN: 0
; COMPUTE_PGM_RSRC2:TIDIG_COMP_CNT: 0
	.type	__hip_cuid_59b8a6b0bcb412b7,@object ; @__hip_cuid_59b8a6b0bcb412b7
	.section	.bss,"aw",@nobits
	.globl	__hip_cuid_59b8a6b0bcb412b7
__hip_cuid_59b8a6b0bcb412b7:
	.byte	0                               ; 0x0
	.size	__hip_cuid_59b8a6b0bcb412b7, 1

	.ident	"AMD clang version 19.0.0git (https://github.com/RadeonOpenCompute/llvm-project roc-6.4.0 25133 c7fe45cf4b819c5991fe208aaa96edf142730f1d)"
	.section	".note.GNU-stack","",@progbits
	.addrsig
	.addrsig_sym __hip_cuid_59b8a6b0bcb412b7
	.amdgpu_metadata
---
amdhsa.kernels:
  - .args:
      - .actual_access:  read_only
        .address_space:  global
        .offset:         0
        .size:           8
        .value_kind:     global_buffer
      - .offset:         8
        .size:           8
        .value_kind:     by_value
      - .actual_access:  read_only
        .address_space:  global
        .offset:         16
        .size:           8
        .value_kind:     global_buffer
      - .actual_access:  read_only
        .address_space:  global
        .offset:         24
        .size:           8
        .value_kind:     global_buffer
      - .actual_access:  read_only
        .address_space:  global
        .offset:         32
        .size:           8
        .value_kind:     global_buffer
      - .offset:         40
        .size:           8
        .value_kind:     by_value
      - .actual_access:  read_only
        .address_space:  global
        .offset:         48
        .size:           8
        .value_kind:     global_buffer
      - .actual_access:  read_only
        .address_space:  global
        .offset:         56
        .size:           8
        .value_kind:     global_buffer
      - .offset:         64
        .size:           4
        .value_kind:     by_value
      - .actual_access:  read_only
        .address_space:  global
        .offset:         72
        .size:           8
        .value_kind:     global_buffer
      - .actual_access:  read_only
        .address_space:  global
        .offset:         80
        .size:           8
        .value_kind:     global_buffer
      - .actual_access:  read_only
        .address_space:  global
        .offset:         88
        .size:           8
        .value_kind:     global_buffer
      - .actual_access:  write_only
        .address_space:  global
        .offset:         96
        .size:           8
        .value_kind:     global_buffer
    .group_segment_fixed_size: 0
    .kernarg_segment_align: 8
    .kernarg_segment_size: 104
    .language:       OpenCL C
    .language_version:
      - 2
      - 0
    .max_flat_workgroup_size: 117
    .name:           fft_rtc_back_len1287_factors_3_13_3_11_wgs_117_tpt_117_half_op_CI_CI_unitstride_sbrr_dirReg
    .private_segment_fixed_size: 0
    .sgpr_count:     33
    .sgpr_spill_count: 0
    .symbol:         fft_rtc_back_len1287_factors_3_13_3_11_wgs_117_tpt_117_half_op_CI_CI_unitstride_sbrr_dirReg.kd
    .uniform_work_group_size: 1
    .uses_dynamic_stack: false
    .vgpr_count:     128
    .vgpr_spill_count: 0
    .wavefront_size: 64
amdhsa.target:   amdgcn-amd-amdhsa--gfx906
amdhsa.version:
  - 1
  - 2
...

	.end_amdgpu_metadata
